;; amdgpu-corpus repo=ROCm/rocFFT kind=compiled arch=gfx1030 opt=O3
	.text
	.amdgcn_target "amdgcn-amd-amdhsa--gfx1030"
	.amdhsa_code_object_version 6
	.protected	fft_rtc_fwd_len160_factors_4_10_4_wgs_192_tpt_16_dp_ip_CI_sbcc_twdbase6_3step_dirReg_intrinsicRead ; -- Begin function fft_rtc_fwd_len160_factors_4_10_4_wgs_192_tpt_16_dp_ip_CI_sbcc_twdbase6_3step_dirReg_intrinsicRead
	.globl	fft_rtc_fwd_len160_factors_4_10_4_wgs_192_tpt_16_dp_ip_CI_sbcc_twdbase6_3step_dirReg_intrinsicRead
	.p2align	8
	.type	fft_rtc_fwd_len160_factors_4_10_4_wgs_192_tpt_16_dp_ip_CI_sbcc_twdbase6_3step_dirReg_intrinsicRead,@function
fft_rtc_fwd_len160_factors_4_10_4_wgs_192_tpt_16_dp_ip_CI_sbcc_twdbase6_3step_dirReg_intrinsicRead: ; @fft_rtc_fwd_len160_factors_4_10_4_wgs_192_tpt_16_dp_ip_CI_sbcc_twdbase6_3step_dirReg_intrinsicRead
; %bb.0:
	s_load_dwordx8 s[8:15], s[4:5], 0x8
	s_mov_b32 s0, exec_lo
	v_cmpx_gt_u32_e32 0xc0, v0
	s_cbranch_execz .LBB0_2
; %bb.1:
	v_lshlrev_b32_e32 v5, 4, v0
	s_waitcnt lgkmcnt(0)
	global_load_dwordx4 v[1:4], v5, s[8:9]
	v_add3_u32 v5, 0, v5, 0x7800
	s_waitcnt vmcnt(0)
	ds_write2_b64 v5, v[1:2], v[3:4] offset1:1
.LBB0_2:
	s_or_b32 exec_lo, exec_lo, s0
	s_waitcnt lgkmcnt(0)
	s_load_dwordx2 s[20:21], s[12:13], 0x8
	s_waitcnt lgkmcnt(0)
	s_add_u32 s0, s20, -1
	s_addc_u32 s1, s21, -1
	s_add_u32 s2, 0, 0x55540000
	s_addc_u32 s3, 0, 0x55
	s_mul_hi_u32 s8, s2, -12
	s_add_i32 s3, s3, 0x15555500
	s_sub_i32 s8, s8, s2
	s_mul_i32 s16, s3, -12
	s_mul_i32 s7, s2, -12
	s_add_i32 s8, s8, s16
	s_mul_hi_u32 s9, s2, s7
	s_mul_i32 s18, s2, s8
	s_mul_hi_u32 s16, s2, s8
	s_mul_hi_u32 s17, s3, s7
	s_mul_i32 s7, s3, s7
	s_add_u32 s9, s9, s18
	s_addc_u32 s16, 0, s16
	s_mul_hi_u32 s19, s3, s8
	s_add_u32 s7, s9, s7
	s_mul_i32 s8, s3, s8
	s_addc_u32 s7, s16, s17
	s_addc_u32 s9, s19, 0
	s_add_u32 s7, s7, s8
	v_add_co_u32 v1, s2, s2, s7
	s_addc_u32 s7, 0, s9
	s_cmp_lg_u32 s2, 0
	s_addc_u32 s2, s3, s7
	v_readfirstlane_b32 s3, v1
	s_mul_i32 s8, s0, s2
	s_mul_hi_u32 s7, s0, s2
	s_mul_hi_u32 s9, s1, s2
	s_mul_i32 s2, s1, s2
	s_mul_hi_u32 s16, s0, s3
	s_mul_hi_u32 s17, s1, s3
	s_mul_i32 s3, s1, s3
	s_add_u32 s8, s16, s8
	s_addc_u32 s7, 0, s7
	s_add_u32 s3, s8, s3
	s_addc_u32 s3, s7, s17
	s_addc_u32 s7, s9, 0
	s_add_u32 s2, s3, s2
	s_addc_u32 s3, 0, s7
	s_mul_i32 s8, s2, 12
	s_add_u32 s7, s2, 1
	v_sub_co_u32 v1, s0, s0, s8
	s_mul_hi_u32 s8, s2, 12
	s_addc_u32 s9, s3, 0
	s_mul_i32 s16, s3, 12
	v_sub_co_u32 v2, s17, v1, 12
	s_add_u32 s18, s2, 2
	s_addc_u32 s19, s3, 0
	s_add_i32 s8, s8, s16
	s_cmp_lg_u32 s0, 0
	v_readfirstlane_b32 s0, v2
	s_subb_u32 s1, s1, s8
	s_cmp_lg_u32 s17, 0
	s_subb_u32 s8, s1, 0
	s_cmp_gt_u32 s0, 11
	s_cselect_b32 s0, -1, 0
	s_cmp_eq_u32 s8, 0
	v_readfirstlane_b32 s8, v1
	s_cselect_b32 s0, s0, -1
	s_cmp_lg_u32 s0, 0
	s_cselect_b32 s0, s18, s7
	s_cselect_b32 s9, s19, s9
	s_cmp_gt_u32 s8, 11
	s_cselect_b32 s7, -1, 0
	s_cmp_eq_u32 s1, 0
	s_cselect_b32 s1, s7, -1
	s_mov_b32 s7, 0
	s_cmp_lg_u32 s1, 0
	s_cselect_b32 s0, s0, s2
	s_cselect_b32 s1, s9, s3
	s_add_u32 s2, s0, 1
	s_addc_u32 s3, s1, 0
	v_cmp_lt_u64_e64 s0, s[6:7], s[2:3]
	s_and_b32 vcc_lo, exec_lo, s0
	s_mov_b64 s[0:1], 0
	s_cbranch_vccnz .LBB0_4
; %bb.3:
	v_cvt_f32_u32_e32 v1, s2
	s_sub_i32 s1, 0, s2
	v_rcp_iflag_f32_e32 v1, v1
	v_mul_f32_e32 v1, 0x4f7ffffe, v1
	v_cvt_u32_f32_e32 v1, v1
	v_readfirstlane_b32 s0, v1
	s_mul_i32 s1, s1, s0
	s_mul_hi_u32 s1, s0, s1
	s_add_i32 s0, s0, s1
	s_mul_hi_u32 s0, s6, s0
	s_mul_i32 s1, s0, s2
	s_add_i32 s8, s0, 1
	s_sub_i32 s1, s6, s1
	s_sub_i32 s9, s1, s2
	s_cmp_ge_u32 s1, s2
	s_cselect_b32 s0, s8, s0
	s_cselect_b32 s1, s9, s1
	s_add_i32 s8, s0, 1
	s_cmp_ge_u32 s1, s2
	s_mov_b32 s1, s7
	s_cselect_b32 s0, s8, s0
.LBB0_4:
	s_load_dwordx4 s[16:19], s[14:15], 0x0
	s_clause 0x1
	s_load_dwordx2 s[8:9], s[4:5], 0x58
	s_load_dwordx2 s[4:5], s[4:5], 0x0
	s_mul_i32 s22, s0, s3
	s_mul_hi_u32 s23, s0, s2
	s_mul_i32 s24, s0, s2
	s_add_i32 s23, s23, s22
	s_sub_u32 s34, s6, s24
	s_subb_u32 s22, 0, s23
	s_mul_hi_u32 s33, s34, 12
	s_mul_i32 s22, s22, 12
	v_cmp_lt_u64_e64 s25, s[10:11], 3
	s_mul_i32 s34, s34, 12
	s_add_i32 s33, s33, s22
	s_and_b32 vcc_lo, exec_lo, s25
	s_waitcnt lgkmcnt(0)
	s_mul_i32 s22, s18, s33
	s_mul_hi_u32 s23, s18, s34
	s_mul_i32 s24, s19, s34
	s_add_i32 s22, s23, s22
	s_mul_i32 s35, s18, s34
	s_add_i32 s36, s22, s24
	s_cbranch_vccnz .LBB0_14
; %bb.5:
	s_add_u32 s22, s14, 16
	s_addc_u32 s23, s15, 0
	s_add_u32 s12, s12, 16
	s_addc_u32 s13, s13, 0
	s_mov_b64 s[24:25], 2
	s_mov_b32 s26, 0
.LBB0_6:                                ; =>This Inner Loop Header: Depth=1
	s_load_dwordx2 s[28:29], s[12:13], 0x0
	s_waitcnt lgkmcnt(0)
	s_or_b64 s[30:31], s[0:1], s[28:29]
	s_mov_b32 s27, s31
                                        ; implicit-def: $sgpr30_sgpr31
	s_cmp_lg_u64 s[26:27], 0
	s_mov_b32 s27, -1
	s_cbranch_scc0 .LBB0_8
; %bb.7:                                ;   in Loop: Header=BB0_6 Depth=1
	v_cvt_f32_u32_e32 v1, s28
	v_cvt_f32_u32_e32 v2, s29
	s_sub_u32 s31, 0, s28
	s_subb_u32 s37, 0, s29
	v_fmac_f32_e32 v1, 0x4f800000, v2
	v_rcp_f32_e32 v1, v1
	v_mul_f32_e32 v1, 0x5f7ffffc, v1
	v_mul_f32_e32 v2, 0x2f800000, v1
	v_trunc_f32_e32 v2, v2
	v_fmac_f32_e32 v1, 0xcf800000, v2
	v_cvt_u32_f32_e32 v2, v2
	v_cvt_u32_f32_e32 v1, v1
	v_readfirstlane_b32 s27, v2
	v_readfirstlane_b32 s30, v1
	s_mul_i32 s38, s31, s27
	s_mul_hi_u32 s40, s31, s30
	s_mul_i32 s39, s37, s30
	s_add_i32 s38, s40, s38
	s_mul_i32 s41, s31, s30
	s_add_i32 s38, s38, s39
	s_mul_hi_u32 s40, s30, s41
	s_mul_hi_u32 s42, s27, s41
	s_mul_i32 s39, s27, s41
	s_mul_hi_u32 s41, s30, s38
	s_mul_i32 s30, s30, s38
	s_mul_hi_u32 s43, s27, s38
	s_add_u32 s30, s40, s30
	s_addc_u32 s40, 0, s41
	s_add_u32 s30, s30, s39
	s_mul_i32 s38, s27, s38
	s_addc_u32 s30, s40, s42
	s_addc_u32 s39, s43, 0
	s_add_u32 s30, s30, s38
	s_addc_u32 s38, 0, s39
	v_add_co_u32 v1, s30, v1, s30
	s_cmp_lg_u32 s30, 0
	s_addc_u32 s27, s27, s38
	v_readfirstlane_b32 s30, v1
	s_mul_i32 s38, s31, s27
	s_mul_hi_u32 s39, s31, s30
	s_mul_i32 s37, s37, s30
	s_add_i32 s38, s39, s38
	s_mul_i32 s31, s31, s30
	s_add_i32 s38, s38, s37
	s_mul_hi_u32 s39, s27, s31
	s_mul_i32 s40, s27, s31
	s_mul_hi_u32 s31, s30, s31
	s_mul_hi_u32 s41, s30, s38
	s_mul_i32 s30, s30, s38
	s_mul_hi_u32 s37, s27, s38
	s_add_u32 s30, s31, s30
	s_addc_u32 s31, 0, s41
	s_add_u32 s30, s30, s40
	s_mul_i32 s38, s27, s38
	s_addc_u32 s30, s31, s39
	s_addc_u32 s31, s37, 0
	s_add_u32 s30, s30, s38
	s_addc_u32 s31, 0, s31
	v_add_co_u32 v1, s30, v1, s30
	s_cmp_lg_u32 s30, 0
	s_addc_u32 s27, s27, s31
	v_readfirstlane_b32 s30, v1
	s_mul_i32 s37, s0, s27
	s_mul_hi_u32 s31, s0, s27
	s_mul_hi_u32 s38, s1, s27
	s_mul_i32 s27, s1, s27
	s_mul_hi_u32 s39, s0, s30
	s_mul_hi_u32 s40, s1, s30
	s_mul_i32 s30, s1, s30
	s_add_u32 s37, s39, s37
	s_addc_u32 s31, 0, s31
	s_add_u32 s30, s37, s30
	s_addc_u32 s30, s31, s40
	s_addc_u32 s31, s38, 0
	s_add_u32 s30, s30, s27
	s_addc_u32 s31, 0, s31
	s_mul_hi_u32 s27, s28, s30
	s_mul_i32 s38, s28, s31
	s_mul_i32 s39, s28, s30
	s_add_i32 s27, s27, s38
	v_sub_co_u32 v1, s38, s0, s39
	s_mul_i32 s37, s29, s30
	s_add_i32 s27, s27, s37
	v_sub_co_u32 v2, s39, v1, s28
	s_sub_i32 s37, s1, s27
	s_cmp_lg_u32 s38, 0
	s_subb_u32 s37, s37, s29
	s_cmp_lg_u32 s39, 0
	v_readfirstlane_b32 s39, v2
	s_subb_u32 s37, s37, 0
	s_cmp_ge_u32 s37, s29
	s_cselect_b32 s40, -1, 0
	s_cmp_ge_u32 s39, s28
	s_cselect_b32 s39, -1, 0
	s_cmp_eq_u32 s37, s29
	s_cselect_b32 s37, s39, s40
	s_add_u32 s39, s30, 1
	s_addc_u32 s40, s31, 0
	s_add_u32 s41, s30, 2
	s_addc_u32 s42, s31, 0
	s_cmp_lg_u32 s37, 0
	s_cselect_b32 s37, s41, s39
	s_cselect_b32 s39, s42, s40
	s_cmp_lg_u32 s38, 0
	v_readfirstlane_b32 s38, v1
	s_subb_u32 s27, s1, s27
	s_cmp_ge_u32 s27, s29
	s_cselect_b32 s40, -1, 0
	s_cmp_ge_u32 s38, s28
	s_cselect_b32 s38, -1, 0
	s_cmp_eq_u32 s27, s29
	s_cselect_b32 s27, s38, s40
	s_cmp_lg_u32 s27, 0
	s_mov_b32 s27, 0
	s_cselect_b32 s31, s39, s31
	s_cselect_b32 s30, s37, s30
.LBB0_8:                                ;   in Loop: Header=BB0_6 Depth=1
	s_andn2_b32 vcc_lo, exec_lo, s27
	s_cbranch_vccnz .LBB0_10
; %bb.9:                                ;   in Loop: Header=BB0_6 Depth=1
	v_cvt_f32_u32_e32 v1, s28
	s_sub_i32 s30, 0, s28
	v_rcp_iflag_f32_e32 v1, v1
	v_mul_f32_e32 v1, 0x4f7ffffe, v1
	v_cvt_u32_f32_e32 v1, v1
	v_readfirstlane_b32 s27, v1
	s_mul_i32 s30, s30, s27
	s_mul_hi_u32 s30, s27, s30
	s_add_i32 s27, s27, s30
	s_mul_hi_u32 s27, s0, s27
	s_mul_i32 s30, s27, s28
	s_add_i32 s31, s27, 1
	s_sub_i32 s30, s0, s30
	s_sub_i32 s37, s30, s28
	s_cmp_ge_u32 s30, s28
	s_cselect_b32 s27, s31, s27
	s_cselect_b32 s30, s37, s30
	s_add_i32 s31, s27, 1
	s_cmp_ge_u32 s30, s28
	s_cselect_b32 s30, s31, s27
	s_mov_b32 s31, s26
.LBB0_10:                               ;   in Loop: Header=BB0_6 Depth=1
	s_load_dwordx2 s[38:39], s[22:23], 0x0
	s_mul_i32 s3, s28, s3
	s_mul_hi_u32 s27, s28, s2
	s_mul_i32 s37, s29, s2
	s_mul_i32 s29, s30, s29
	s_mul_hi_u32 s40, s30, s28
	s_mul_i32 s41, s31, s28
	s_add_i32 s3, s27, s3
	s_add_i32 s27, s40, s29
	s_mul_i32 s42, s30, s28
	s_add_i32 s3, s3, s37
	s_add_i32 s27, s27, s41
	s_sub_u32 s0, s0, s42
	s_subb_u32 s1, s1, s27
	s_mul_i32 s2, s28, s2
	s_waitcnt lgkmcnt(0)
	s_mul_i32 s1, s38, s1
	s_mul_hi_u32 s27, s38, s0
	s_add_i32 s1, s27, s1
	s_mul_i32 s27, s39, s0
	s_mul_i32 s0, s38, s0
	s_add_i32 s1, s1, s27
	s_add_u32 s35, s0, s35
	s_addc_u32 s36, s1, s36
	s_add_u32 s24, s24, 1
	s_addc_u32 s25, s25, 0
	s_add_u32 s22, s22, 8
	v_cmp_ge_u64_e64 s0, s[24:25], s[10:11]
	s_addc_u32 s23, s23, 0
	s_add_u32 s12, s12, 8
	s_addc_u32 s13, s13, 0
	s_and_b32 vcc_lo, exec_lo, s0
	s_cbranch_vccnz .LBB0_12
; %bb.11:                               ;   in Loop: Header=BB0_6 Depth=1
	s_mov_b64 s[0:1], s[30:31]
	s_branch .LBB0_6
.LBB0_12:
	v_cmp_lt_u64_e64 s0, s[6:7], s[2:3]
	s_and_b32 vcc_lo, exec_lo, s0
	s_mov_b64 s[0:1], 0
	s_cbranch_vccnz .LBB0_14
; %bb.13:
	v_cvt_f32_u32_e32 v1, s2
	s_sub_i32 s1, 0, s2
	v_rcp_iflag_f32_e32 v1, v1
	v_mul_f32_e32 v1, 0x4f7ffffe, v1
	v_cvt_u32_f32_e32 v1, v1
	v_readfirstlane_b32 s0, v1
	s_mul_i32 s1, s1, s0
	s_mul_hi_u32 s1, s0, s1
	s_add_i32 s0, s0, s1
	s_mul_hi_u32 s0, s6, s0
	s_mul_i32 s1, s0, s2
	s_add_i32 s3, s0, 1
	s_sub_i32 s1, s6, s1
	s_sub_i32 s6, s1, s2
	s_cmp_ge_u32 s1, s2
	s_cselect_b32 s0, s3, s0
	s_cselect_b32 s1, s6, s1
	s_add_i32 s3, s0, 1
	s_cmp_ge_u32 s1, s2
	s_cselect_b32 s0, s3, s0
.LBB0_14:
	s_lshl_b64 s[2:3], s[10:11], 3
	v_mul_hi_u32 v124, 0x15555556, v0
	s_add_u32 s2, s14, s2
	s_addc_u32 s3, s15, s3
	s_mov_b32 s11, 0x31014000
	s_load_dwordx2 s[2:3], s[2:3], 0x0
	s_mov_b32 s10, -2
	v_mul_u32_u24_e32 v1, 12, v124
	v_add_nc_u32_e32 v125, 40, v124
	v_add_nc_u32_e32 v126, 0x50, v124
	v_mul_lo_u32 v2, s16, v124
	v_add_nc_u32_e32 v127, 0x78, v124
	v_sub_nc_u32_e32 v17, v0, v1
	v_mul_lo_u32 v3, s16, v125
	v_mul_lo_u32 v4, s16, v126
	v_add_nc_u32_e32 v128, 16, v124
	v_or_b32_e32 v1, 0x60, v124
	v_add_co_u32 v60, s1, s34, v17
	v_add_co_ci_u32_e64 v61, null, s33, 0, s1
	v_mad_u64_u32 v[116:117], null, s18, v17, 0
	s_waitcnt lgkmcnt(0)
	s_mul_i32 s1, s3, s0
	s_mul_hi_u32 s3, s2, s0
	s_mul_i32 s0, s2, s0
	s_add_i32 s3, s3, s1
	s_add_u32 s2, s0, s35
	s_addc_u32 s3, s3, s36
	s_add_u32 s6, s34, 12
	s_addc_u32 s7, s33, 0
	v_cmp_gt_u64_e64 s1, s[20:21], v[60:61]
	v_cmp_le_u64_e64 s13, s[6:7], s[20:21]
	v_add_lshl_u32 v3, v116, v3, 4
	v_add_lshl_u32 v6, v116, v4, 4
	v_add_nc_u32_e32 v4, 56, v124
	v_add_lshl_u32 v2, v116, v2, 4
	v_mul_lo_u32 v5, s16, v127
	s_or_b32 vcc_lo, s13, s1
	v_mul_lo_u32 v10, s16, v128
	v_cndmask_b32_e32 v7, -1, v3, vcc_lo
	v_add_nc_u32_e32 v3, 0x88, v124
	v_mul_lo_u32 v8, s16, v4
	v_mul_lo_u32 v11, s16, v1
	v_cndmask_b32_e32 v2, -1, v2, vcc_lo
	s_lshl_b32 s12, s2, 4
	v_mul_lo_u32 v16, s16, v3
	v_add_lshl_u32 v5, v116, v5, 4
	s_clause 0x1
	buffer_load_dwordx4 v[1:4], v2, s[8:11], s12 offen
	buffer_load_dwordx4 v[12:15], v7, s[8:11], s12 offen
	v_add_lshl_u32 v7, v116, v8, 4
	v_add_lshl_u32 v10, v116, v10, 4
	;; [unrolled: 1-line block ×3, first 2 shown]
	v_cmp_gt_u32_e64 s0, 0x60, v0
	v_add_lshl_u32 v16, v116, v16, 4
	v_cndmask_b32_e32 v6, -1, v6, vcc_lo
	v_cndmask_b32_e32 v18, -1, v5, vcc_lo
	;; [unrolled: 1-line block ×6, first 2 shown]
	v_cmp_lt_u32_e32 vcc_lo, 0x5f, v0
	v_cndmask_b32_e64 v9, 0, 1, s1
	v_cndmask_b32_e64 v0, 0, 1, s0
	v_add_nc_u32_e32 v120, 0x70, v124
	s_clause 0x2
	buffer_load_dwordx4 v[5:8], v6, s[8:11], s12 offen
	buffer_load_dwordx4 v[18:21], v18, s[8:11], s12 offen
	;; [unrolled: 1-line block ×3, first 2 shown]
	v_or_b32_e32 v122, 32, v124
	s_or_b32 vcc_lo, vcc_lo, s13
	s_clause 0x2
	buffer_load_dwordx4 v[26:29], v11, s[8:11], s12 offen
	buffer_load_dwordx4 v[30:33], v16, s[8:11], s12 offen
	;; [unrolled: 1-line block ×3, first 2 shown]
	v_add_nc_u32_e32 v123, 0x48, v124
	v_add_nc_u32_e32 v121, 0x98, v124
	v_cndmask_b32_e32 v0, v9, v0, vcc_lo
	v_mad_u64_u32 v[110:111], null, s16, v120, 0
	v_mad_u64_u32 v[114:115], null, s16, v122, 0
	;; [unrolled: 1-line block ×4, first 2 shown]
	v_and_b32_e32 v0, 1, v0
	v_add_lshl_u32 v10, v116, v110, 4
	v_add_lshl_u32 v9, v116, v114, 4
	v_mul_u32_u24_e32 v16, 48, v124
	v_cmp_gt_u64_e64 s22, s[6:7], s[20:21]
	v_cmp_eq_u32_e32 vcc_lo, 1, v0
	v_add_lshl_u32 v0, v116, v112, 4
	v_add_lshl_u32 v11, v116, v108, 4
	v_cndmask_b32_e32 v10, -1, v10, vcc_lo
	v_cndmask_b32_e32 v9, -1, v9, vcc_lo
	;; [unrolled: 1-line block ×4, first 2 shown]
	s_clause 0x3
	buffer_load_dwordx4 v[38:41], v10, s[8:11], s12 offen
	buffer_load_dwordx4 v[42:45], v9, s[8:11], s12 offen
	;; [unrolled: 1-line block ×4, first 2 shown]
	s_waitcnt vmcnt(9)
	v_add_f64 v[54:55], v[1:2], -v[5:6]
	v_add_f64 v[56:57], v[3:4], -v[7:8]
	s_waitcnt vmcnt(8)
	v_add_f64 v[5:6], v[12:13], -v[18:19]
	v_add_f64 v[18:19], v[14:15], -v[20:21]
	s_waitcnt vmcnt(5)
	v_add_f64 v[30:31], v[22:23], -v[30:31]
	s_waitcnt vmcnt(4)
	v_add_f64 v[61:62], v[36:37], -v[28:29]
	v_add_f64 v[32:33], v[24:25], -v[32:33]
	;; [unrolled: 1-line block ×4, first 2 shown]
	v_fma_f64 v[63:64], v[22:23], 2.0, -v[30:31]
	v_fma_f64 v[69:70], v[36:37], 2.0, -v[61:62]
	;; [unrolled: 1-line block ×4, first 2 shown]
	s_waitcnt vmcnt(2)
	v_add_f64 v[8:9], v[42:43], -v[38:39]
	v_add_f64 v[10:11], v[44:45], -v[40:41]
	s_waitcnt vmcnt(0)
	v_add_f64 v[38:39], v[46:47], -v[50:51]
	v_fma_f64 v[50:51], v[1:2], 2.0, -v[54:55]
	v_fma_f64 v[2:3], v[3:4], 2.0, -v[56:57]
	;; [unrolled: 1-line block ×3, first 2 shown]
	v_add_f64 v[36:37], v[48:49], -v[52:53]
	v_fma_f64 v[0:1], v[12:13], 2.0, -v[5:6]
	v_add_f64 v[26:27], v[61:62], v[30:31]
	v_add_f64 v[22:23], v[56:57], v[5:6]
	v_add_f64 v[24:25], v[58:59], -v[32:33]
	v_add_f64 v[34:35], v[69:70], -v[65:66]
	;; [unrolled: 1-line block ×3, first 2 shown]
	v_fma_f64 v[12:13], v[42:43], 2.0, -v[8:9]
	v_fma_f64 v[14:15], v[44:45], 2.0, -v[10:11]
	;; [unrolled: 1-line block ×3, first 2 shown]
	v_add_f64 v[6:7], v[10:11], v[38:39]
	v_add_f64 v[30:31], v[2:3], -v[40:41]
	v_fma_f64 v[52:53], v[48:49], 2.0, -v[36:37]
	v_add_f64 v[28:29], v[50:51], -v[0:1]
	v_add_f64 v[4:5], v[8:9], -v[36:37]
	v_fma_f64 v[36:37], v[54:55], 2.0, -v[20:21]
	v_fma_f64 v[38:39], v[56:57], 2.0, -v[22:23]
	;; [unrolled: 1-line block ×5, first 2 shown]
	v_add_f64 v[0:1], v[12:13], -v[18:19]
	v_lshl_add_u32 v19, v16, 4, 0
	v_lshlrev_b32_e32 v16, 4, v17
	v_fma_f64 v[46:47], v[2:3], 2.0, -v[30:31]
	v_add_f64 v[2:3], v[14:15], -v[52:53]
	v_fma_f64 v[44:45], v[50:51], 2.0, -v[28:29]
	v_fma_f64 v[50:51], v[69:70], 2.0, -v[34:35]
	v_mov_b32_e32 v52, v117
	v_add_nc_u32_e32 v53, v19, v16
	v_add_nc_u32_e32 v18, 0x3000, v19
	v_mad_u64_u32 v[117:118], null, s19, v17, v[52:53]
	v_add_nc_u32_e32 v54, v18, v16
	ds_write_b128 v53, v[20:23] offset:576
	ds_write_b128 v53, v[36:39] offset:192
	;; [unrolled: 1-line block ×5, first 2 shown]
	ds_write_b128 v53, v[44:47]
	ds_write_b128 v54, v[48:51]
	ds_write_b128 v54, v[24:27] offset:576
	s_and_saveexec_b32 s6, s0
	s_cbranch_execz .LBB0_16
; %bb.15:
	v_fma_f64 v[14:15], v[14:15], 2.0, -v[2:3]
	v_fma_f64 v[12:13], v[12:13], 2.0, -v[0:1]
	;; [unrolled: 1-line block ×4, first 2 shown]
	v_lshl_add_u32 v17, v17, 4, v18
	ds_write_b128 v17, v[0:3] offset:12672
	ds_write_b128 v17, v[12:15] offset:12288
	;; [unrolled: 1-line block ×4, first 2 shown]
.LBB0_16:
	s_or_b32 exec_lo, exec_lo, s6
	v_and_b32_e32 v8, 3, v124
	s_waitcnt lgkmcnt(0)
	s_barrier
	buffer_gl0_inv
	s_mov_b32 s6, 0x134454ff
	v_mul_u32_u24_e32 v9, 9, v8
	s_mov_b32 s7, 0x3fee6f0e
	s_mov_b32 s11, 0xbfee6f0e
	;; [unrolled: 1-line block ×4, first 2 shown]
	v_lshlrev_b32_e32 v13, 4, v9
	s_mov_b32 s15, 0x3fe2cf23
	s_mov_b32 s13, 0xbfe2cf23
	;; [unrolled: 1-line block ×4, first 2 shown]
	s_clause 0x8
	global_load_dwordx4 v[9:12], v13, s[4:5] offset:32
	global_load_dwordx4 v[20:23], v13, s[4:5] offset:64
	;; [unrolled: 1-line block ×4, first 2 shown]
	global_load_dwordx4 v[32:35], v13, s[4:5]
	global_load_dwordx4 v[36:39], v13, s[4:5] offset:16
	global_load_dwordx4 v[40:43], v13, s[4:5] offset:48
	;; [unrolled: 1-line block ×4, first 2 shown]
	v_mul_i32_i24_e32 v13, 0xfffffdc0, v124
	s_mov_b32 s19, 0x3fd3c6ef
	s_mov_b32 s20, 0x9b97f4a8
	;; [unrolled: 1-line block ×3, first 2 shown]
	v_lshrrev_b32_e32 v15, 2, v124
	v_add3_u32 v48, v19, v13, v16
	v_mul_i32_i24_e32 v13, 0xfffffdc0, v128
	ds_read_b128 v[54:57], v48 offset:9216
	ds_read_b128 v[61:64], v48 offset:15360
	ds_read_b128 v[65:68], v48 offset:21504
	ds_read_b128 v[69:72], v48 offset:27648
	v_add3_u32 v49, v18, v13, v16
	v_mul_u32_u24_e32 v15, 40, v15
	ds_read_b128 v[73:76], v49
	ds_read_b128 v[77:80], v48 offset:12288
	ds_read_b128 v[81:84], v49 offset:3072
	;; [unrolled: 1-line block ×4, first 2 shown]
	ds_read_b128 v[93:96], v48
	s_waitcnt vmcnt(0) lgkmcnt(0)
	s_barrier
	buffer_gl0_inv
	v_mul_f64 v[13:14], v[56:57], v[11:12]
	v_mul_f64 v[11:12], v[54:55], v[11:12]
	;; [unrolled: 1-line block ×16, first 2 shown]
	v_fma_f64 v[13:14], v[54:55], v[9:10], -v[13:14]
	v_fma_f64 v[9:10], v[56:57], v[9:10], v[11:12]
	v_fma_f64 v[11:12], v[61:62], v[20:21], -v[17:18]
	v_fma_f64 v[17:18], v[63:64], v[20:21], v[22:23]
	v_fma_f64 v[19:20], v[67:68], v[24:25], v[58:59]
	;; [unrolled: 1-line block ×3, first 2 shown]
	v_fma_f64 v[28:29], v[69:70], v[28:29], -v[30:31]
	v_fma_f64 v[23:24], v[65:66], v[24:25], -v[26:27]
	v_mul_f64 v[25:26], v[85:86], v[46:47]
	v_fma_f64 v[58:59], v[73:74], v[32:33], -v[99:100]
	v_fma_f64 v[46:47], v[81:82], v[36:37], -v[101:102]
	v_fma_f64 v[32:33], v[75:76], v[32:33], v[34:35]
	v_fma_f64 v[34:35], v[83:84], v[36:37], v[38:39]
	;; [unrolled: 1-line block ×3, first 2 shown]
	v_mul_f64 v[30:31], v[89:90], v[52:53]
	v_fma_f64 v[52:53], v[77:78], v[40:41], -v[103:104]
	v_fma_f64 v[54:55], v[85:86], v[44:45], -v[105:106]
	;; [unrolled: 1-line block ×3, first 2 shown]
	v_add_f64 v[99:100], v[11:12], -v[13:14]
	v_add_f64 v[103:104], v[9:10], -v[17:18]
	v_add_f64 v[38:39], v[17:18], v[19:20]
	v_add_f64 v[40:41], v[9:10], v[21:22]
	;; [unrolled: 1-line block ×4, first 2 shown]
	v_fma_f64 v[25:26], v[87:88], v[44:45], v[25:26]
	v_add_f64 v[65:66], v[17:18], -v[19:20]
	v_add_f64 v[67:68], v[13:14], -v[28:29]
	;; [unrolled: 1-line block ×5, first 2 shown]
	v_fma_f64 v[30:31], v[91:92], v[50:51], v[30:31]
	v_add_f64 v[91:92], v[13:14], -v[11:12]
	v_add_f64 v[44:45], v[52:53], v[54:55]
	v_add_f64 v[50:51], v[46:47], v[56:57]
	v_add_f64 v[101:102], v[23:24], -v[28:29]
	v_add_f64 v[105:106], v[21:22], -v[19:20]
	;; [unrolled: 1-line block ×4, first 2 shown]
	v_add_f64 v[79:80], v[93:94], v[46:47]
	v_add_f64 v[81:82], v[95:96], v[34:35]
	;; [unrolled: 1-line block ×4, first 2 shown]
	v_fma_f64 v[38:39], v[38:39], -0.5, v[32:33]
	v_fma_f64 v[40:41], v[40:41], -0.5, v[32:33]
	;; [unrolled: 1-line block ×4, first 2 shown]
	v_add_f64 v[71:72], v[36:37], v[25:26]
	v_add_f64 v[75:76], v[46:47], -v[52:53]
	v_add_f64 v[77:78], v[56:57], -v[54:55]
	;; [unrolled: 1-line block ×5, first 2 shown]
	v_add_f64 v[73:74], v[34:35], v[30:31]
	v_add_f64 v[143:144], v[36:37], -v[25:26]
	v_add_f64 v[32:33], v[46:47], -v[56:57]
	;; [unrolled: 1-line block ×3, first 2 shown]
	v_fma_f64 v[44:45], v[44:45], -0.5, v[93:94]
	v_fma_f64 v[46:47], v[50:51], -0.5, v[93:94]
	v_add_f64 v[58:59], v[91:92], v[97:98]
	v_add_f64 v[91:92], v[103:104], v[105:106]
	v_add_f64 v[141:142], v[52:53], -v[54:55]
	v_add_f64 v[93:94], v[118:119], v[129:130]
	v_add_f64 v[52:53], v[79:80], v[52:53]
	;; [unrolled: 1-line block ×3, first 2 shown]
	v_fma_f64 v[131:132], v[67:68], s[10:11], v[38:39]
	v_fma_f64 v[133:134], v[63:64], s[6:7], v[40:41]
	;; [unrolled: 1-line block ×8, first 2 shown]
	v_fma_f64 v[50:51], v[71:72], -0.5, v[95:96]
	v_add_f64 v[71:72], v[99:100], v[101:102]
	v_fma_f64 v[73:74], v[73:74], -0.5, v[95:96]
	v_add_f64 v[11:12], v[13:14], v[11:12]
	v_add_f64 v[9:10], v[9:10], v[17:18]
	v_add_f64 v[89:90], v[30:31], -v[25:26]
	v_fma_f64 v[13:14], v[34:35], s[6:7], v[44:45]
	v_fma_f64 v[17:18], v[34:35], s[10:11], v[44:45]
	;; [unrolled: 1-line block ×4, first 2 shown]
	v_add_f64 v[85:86], v[54:55], -v[56:57]
	v_add_f64 v[95:96], v[25:26], -v[30:31]
	v_add_f64 v[52:53], v[52:53], v[54:55]
	v_add_f64 v[25:26], v[36:37], v[25:26]
	v_fma_f64 v[97:98], v[63:64], s[12:13], v[131:132]
	v_fma_f64 v[99:100], v[67:68], s[12:13], v[133:134]
	;; [unrolled: 1-line block ×8, first 2 shown]
	v_add_f64 v[63:64], v[75:76], v[77:78]
	v_fma_f64 v[67:68], v[32:33], s[10:11], v[50:51]
	v_fma_f64 v[50:51], v[32:33], s[6:7], v[50:51]
	v_fma_f64 v[81:82], v[141:142], s[6:7], v[73:74]
	v_fma_f64 v[73:74], v[141:142], s[10:11], v[73:74]
	v_add_f64 v[11:12], v[11:12], v[23:24]
	v_add_f64 v[9:10], v[9:10], v[19:20]
	v_fma_f64 v[13:14], v[143:144], s[14:15], v[13:14]
	v_fma_f64 v[19:20], v[34:35], s[14:15], v[44:45]
	;; [unrolled: 1-line block ×3, first 2 shown]
	v_add_f64 v[65:66], v[83:84], v[85:86]
	v_fma_f64 v[17:18], v[143:144], s[12:13], v[17:18]
	v_add_f64 v[52:53], v[52:53], v[56:57]
	v_add_f64 v[25:26], v[25:26], v[30:31]
	v_fma_f64 v[69:70], v[91:92], s[18:19], v[97:98]
	v_fma_f64 v[75:76], v[93:94], s[18:19], v[99:100]
	;; [unrolled: 1-line block ×8, first 2 shown]
	v_add_f64 v[61:62], v[87:88], v[89:90]
	v_fma_f64 v[34:35], v[141:142], s[12:13], v[67:68]
	v_fma_f64 v[36:37], v[141:142], s[14:15], v[50:51]
	v_add_f64 v[71:72], v[139:140], v[95:96]
	v_fma_f64 v[67:68], v[32:33], s[12:13], v[81:82]
	v_fma_f64 v[32:33], v[32:33], s[14:15], v[73:74]
	v_add_f64 v[11:12], v[11:12], v[28:29]
	v_add_f64 v[9:10], v[9:10], v[21:22]
	v_fma_f64 v[13:14], v[63:64], s[18:19], v[13:14]
	v_fma_f64 v[56:57], v[63:64], s[18:19], v[17:18]
	v_fma_f64 v[63:64], v[65:66], s[18:19], v[19:20]
	v_fma_f64 v[65:66], v[65:66], s[18:19], v[23:24]
	v_mul_f64 v[44:45], v[69:70], s[14:15]
	v_mul_f64 v[46:47], v[75:76], s[6:7]
	;; [unrolled: 1-line block ×8, first 2 shown]
	v_fma_f64 v[87:88], v[61:62], s[18:19], v[34:35]
	v_fma_f64 v[61:62], v[61:62], s[18:19], v[36:37]
	v_add_f64 v[17:18], v[52:53], v[11:12]
	v_add_f64 v[19:20], v[25:26], v[9:10]
	v_add_f64 v[21:22], v[52:53], -v[11:12]
	v_add_f64 v[23:24], v[25:26], -v[9:10]
	v_fma_f64 v[35:36], v[79:80], s[20:21], v[44:45]
	v_fma_f64 v[45:46], v[42:43], s[18:19], v[46:47]
	v_fma_f64 v[79:80], v[40:41], s[6:7], -v[50:51]
	v_fma_f64 v[40:41], v[69:70], s[20:21], v[54:55]
	v_fma_f64 v[54:55], v[71:72], s[18:19], v[67:68]
	;; [unrolled: 1-line block ×4, first 2 shown]
	v_fma_f64 v[69:70], v[38:39], s[14:15], -v[73:74]
	v_fma_f64 v[73:74], v[77:78], s[10:11], -v[83:84]
	;; [unrolled: 1-line block ×3, first 2 shown]
	v_or_b32_e32 v47, v15, v8
	v_add_f64 v[25:26], v[13:14], v[35:36]
	v_add_f64 v[29:30], v[63:64], v[45:46]
	;; [unrolled: 1-line block ×4, first 2 shown]
	v_add_f64 v[37:38], v[13:14], -v[35:36]
	v_add_f64 v[39:40], v[87:88], -v[40:41]
	v_add_f64 v[31:32], v[54:55], v[71:72]
	v_add_f64 v[41:42], v[56:57], v[69:70]
	;; [unrolled: 1-line block ×4, first 2 shown]
	v_add_f64 v[50:51], v[63:64], -v[45:46]
	v_add_f64 v[52:53], v[54:55], -v[71:72]
	;; [unrolled: 1-line block ×6, first 2 shown]
	v_mul_u32_u24_e32 v45, 0xc0, v47
	v_add3_u32 v16, 0, v45, v16
	ds_write_b128 v16, v[17:20]
	ds_write_b128 v16, v[21:24] offset:3840
	ds_write_b128 v16, v[25:28] offset:768
	ds_write_b128 v16, v[29:32] offset:1536
	ds_write_b128 v16, v[33:36] offset:2304
	ds_write_b128 v16, v[41:44] offset:3072
	ds_write_b128 v16, v[37:40] offset:4608
	ds_write_b128 v16, v[50:53] offset:5376
	ds_write_b128 v16, v[8:11] offset:6144
	ds_write_b128 v16, v[12:15] offset:6912
	s_waitcnt lgkmcnt(0)
	s_barrier
	buffer_gl0_inv
	ds_read_b128 v[20:23], v48
	ds_read_b128 v[44:47], v48 offset:7680
	ds_read_b128 v[40:43], v48 offset:15360
	;; [unrolled: 1-line block ×5, first 2 shown]
	ds_read_b128 v[16:19], v49
	ds_read_b128 v[24:27], v48 offset:26112
	s_and_saveexec_b32 s6, s0
	s_cbranch_execz .LBB0_18
; %bb.17:
	v_add_nc_u32_e32 v4, 0xc00, v49
	ds_read_b128 v[12:15], v48 offset:13824
	ds_read_b128 v[0:3], v48 offset:21504
	ds_read_b128 v[8:11], v4
	ds_read_b128 v[4:7], v48 offset:29184
.LBB0_18:
	s_or_b32 exec_lo, exec_lo, s6
	v_mul_hi_u32 v129, 0x6666667, v128
	v_mul_u32_u24_e32 v48, 3, v124
	v_mul_lo_u32 v87, v124, v60
	v_mul_lo_u32 v107, v60, 40
	v_lshlrev_b32_e32 v50, 4, v48
	v_mul_u32_u24_e32 v49, 40, v129
	v_lshrrev_b32_e32 v88, 2, v87
	s_clause 0x1
	global_load_dwordx4 v[61:64], v50, s[4:5] offset:576
	global_load_dwordx4 v[65:68], v50, s[4:5] offset:592
	v_sub_nc_u32_e32 v85, v128, v49
	v_mov_b32_e32 v49, 0
	v_add_nc_u32_e32 v90, v87, v107
	v_and_b32_e32 v89, 63, v87
	v_lshrrev_b32_e32 v87, 8, v87
	v_mul_i32_i24_e32 v48, 3, v85
	v_mul_lo_u32 v102, v85, v60
	v_add_nc_u32_e32 v93, v90, v107
	v_lshrrev_b32_e32 v91, 2, v90
	v_and_b32_e32 v92, 63, v90
	v_lshlrev_b64 v[48:49], 4, v[48:49]
	v_lshrrev_b32_e32 v90, 8, v90
	v_lshrrev_b32_e32 v97, 2, v93
	v_and_b32_e32 v95, 0x3f0, v91
	v_add_nc_u32_e32 v101, v93, v107
	v_and_b32_e32 v98, 63, v93
	v_add_co_u32 v48, vcc_lo, s4, v48
	v_add_co_ci_u32_e32 v49, vcc_lo, s5, v49, vcc_lo
	v_lshrrev_b32_e32 v104, 8, v93
	v_and_b32_e32 v88, 0x3f0, v88
	s_clause 0x3
	global_load_dwordx4 v[69:72], v50, s[4:5] offset:608
	global_load_dwordx4 v[73:76], v[48:49], off offset:576
	global_load_dwordx4 v[77:80], v[48:49], off offset:592
	;; [unrolled: 1-line block ×3, first 2 shown]
	v_mul_hi_u32 v48, 0x6666667, v122
	v_and_b32_e32 v87, 0x3f0, v87
	v_and_b32_e32 v103, 0x3f0, v90
	;; [unrolled: 1-line block ×3, first 2 shown]
	v_lshl_add_u32 v89, v89, 4, 0
	v_lshl_add_u32 v96, v92, 4, 0
	;; [unrolled: 1-line block ×3, first 2 shown]
	v_and_b32_e32 v130, 63, v101
	v_mul_u32_u24_e32 v48, 40, v48
	v_lshrrev_b32_e32 v134, 8, v101
	v_and_b32_e32 v135, 0x3f0, v104
	v_and_b32_e32 v136, 63, v102
	v_lshrrev_b32_e32 v137, 2, v102
	v_sub_nc_u32_e32 v86, v122, v48
	v_add_nc_u32_e32 v138, v102, v107
	v_lshrrev_b32_e32 v139, 8, v102
	v_lshrrev_b32_e32 v118, 2, v101
	v_lshl_add_u32 v143, v130, 4, 0
	v_mul_u32_u24_e32 v48, 3, v86
	v_mul_lo_u32 v60, v86, v60
	v_and_b32_e32 v150, 0x3f0, v137
	v_lshl_add_u32 v160, v136, 4, 0
	v_lshrrev_b32_e32 v151, 2, v138
	v_lshlrev_b32_e32 v56, 4, v48
	v_and_b32_e32 v152, 63, v138
	v_add_nc_u32_e32 v153, v138, v107
	v_lshrrev_b32_e32 v154, 8, v138
	s_clause 0x2
	global_load_dwordx4 v[48:51], v56, s[4:5] offset:608
	global_load_dwordx4 v[52:55], v56, s[4:5] offset:592
	;; [unrolled: 1-line block ×3, first 2 shown]
	s_add_i32 s4, 0, 0x7800
	v_and_b32_e32 v140, 63, v60
	v_add_nc_u32_e32 v105, s4, v95
	v_lshrrev_b32_e32 v141, 2, v60
	v_add_nc_u32_e32 v94, s4, v88
	v_add_nc_u32_e32 v99, s4, v87
	;; [unrolled: 1-line block ×4, first 2 shown]
	ds_read_b128 v[85:88], v89 offset:30720
	ds_read_b128 v[89:92], v94 offset:1024
	;; [unrolled: 1-line block ×6, first 2 shown]
	v_and_b32_e32 v105, 0x3f0, v134
	v_add_nc_u32_e32 v146, s4, v135
	v_and_b32_e32 v155, 0x3f0, v139
	v_lshl_add_u32 v176, v140, 4, 0
	v_and_b32_e32 v156, 0x3f0, v141
	ds_read_b128 v[134:137], v119 offset:30720
	ds_read_b128 v[138:141], v106 offset:1024
	v_lshrrev_b32_e32 v142, 8, v60
	v_add_nc_u32_e32 v60, v60, v107
	v_and_b32_e32 v118, 0x3f0, v118
	v_add_nc_u32_e32 v163, s4, v150
	v_and_b32_e32 v164, 0x3f0, v151
	;; [unrolled: 2-line block ×3, first 2 shown]
	v_lshrrev_b32_e32 v159, 2, v60
	v_lshrrev_b32_e32 v161, 8, v60
	v_add_nc_u32_e32 v177, v60, v107
	v_add_nc_u32_e32 v60, s4, v118
	s_waitcnt lgkmcnt(6)
	v_mul_f64 v[105:106], v[87:88], v[91:92]
	v_mul_f64 v[91:92], v[85:86], v[91:92]
	s_waitcnt lgkmcnt(3)
	v_mul_f64 v[118:119], v[95:96], v[103:104]
	v_mul_f64 v[103:104], v[93:94], v[103:104]
	v_and_b32_e32 v169, 0x3f0, v154
	v_add_nc_u32_e32 v170, s4, v155
	v_lshl_add_u32 v181, v158, 4, 0
	v_and_b32_e32 v182, 0x3f0, v159
	s_waitcnt lgkmcnt(0)
	v_mul_f64 v[150:151], v[136:137], v[140:141]
	v_mul_f64 v[140:141], v[134:135], v[140:141]
	v_and_b32_e32 v157, 0x3f0, v142
	v_lshl_add_u32 v165, v152, 4, 0
	v_add_nc_u32_e32 v171, s4, v164
	ds_read_b128 v[142:145], v143 offset:30720
	ds_read_b128 v[146:149], v146 offset:2048
	v_lshrrev_b32_e32 v166, 2, v153
	v_and_b32_e32 v167, 63, v153
	v_add_nc_u32_e32 v168, v153, v107
	v_lshrrev_b32_e32 v178, 8, v153
	v_add_nc_u32_e32 v179, s4, v156
	v_add_nc_u32_e32 v180, s4, v157
	v_and_b32_e32 v183, 0x3f0, v161
	v_lshl_add_u32 v172, v167, 4, 0
	v_fma_f64 v[105:106], v[85:86], v[89:90], -v[105:106]
	v_fma_f64 v[152:153], v[87:88], v[89:90], v[91:92]
	ds_read_b128 v[85:88], v60 offset:1024
	ds_read_b128 v[89:92], v162 offset:2048
	v_fma_f64 v[118:119], v[93:94], v[101:102], -v[118:119]
	v_fma_f64 v[156:157], v[95:96], v[101:102], v[103:104]
	ds_read_b128 v[93:96], v160 offset:30720
	ds_read_b128 v[101:104], v163 offset:1024
	v_lshrrev_b32_e32 v167, 2, v168
	v_add_nc_u32_e32 v169, s4, v169
	v_fma_f64 v[134:135], v[134:135], v[138:139], -v[150:151]
	v_fma_f64 v[136:137], v[136:137], v[138:139], v[140:141]
	v_and_b32_e32 v173, 63, v168
	v_and_b32_e32 v166, 0x3f0, v166
	v_lshrrev_b32_e32 v186, 8, v168
	v_and_b32_e32 v184, 63, v177
	v_lshrrev_b32_e32 v185, 2, v177
	v_lshl_add_u32 v173, v173, 4, 0
	v_add_nc_u32_e32 v107, v177, v107
	s_and_b32 vcc_lo, exec_lo, s22
	s_waitcnt vmcnt(8)
	v_mul_f64 v[154:155], v[46:47], v[63:64]
	v_mul_f64 v[63:64], v[44:45], v[63:64]
	s_waitcnt vmcnt(7)
	v_mul_f64 v[158:159], v[42:43], v[67:68]
	v_mul_f64 v[67:68], v[40:41], v[67:68]
	s_waitcnt vmcnt(6)
	v_mul_f64 v[138:139], v[38:39], v[71:72]
	s_waitcnt vmcnt(5)
	v_mul_f64 v[140:141], v[34:35], v[75:76]
	v_mul_f64 v[71:72], v[36:37], v[71:72]
	;; [unrolled: 1-line block ×3, first 2 shown]
	v_fma_f64 v[150:151], v[44:45], v[61:62], -v[154:155]
	v_fma_f64 v[154:155], v[46:47], v[61:62], v[63:64]
	ds_read_b128 v[44:47], v165 offset:30720
	ds_read_b128 v[60:63], v170 offset:2048
	s_waitcnt vmcnt(4)
	v_mul_f64 v[160:161], v[30:31], v[79:80]
	v_mul_f64 v[79:80], v[28:29], v[79:80]
	s_waitcnt vmcnt(3)
	v_mul_f64 v[164:165], v[26:27], v[83:84]
	v_mul_f64 v[83:84], v[24:25], v[83:84]
	v_fma_f64 v[158:159], v[40:41], v[65:66], -v[158:159]
	v_fma_f64 v[162:163], v[42:43], v[65:66], v[67:68]
	ds_read_b128 v[40:43], v171 offset:1024
	ds_read_b128 v[64:67], v169 offset:2048
	v_and_b32_e32 v171, 0x3f0, v167
	v_add_nc_u32_e32 v170, s4, v166
	v_fma_f64 v[138:139], v[36:37], v[69:70], -v[138:139]
	v_fma_f64 v[140:141], v[32:33], v[73:74], -v[140:141]
	v_add_nc_u32_e32 v32, s4, v171
	v_fma_f64 v[166:167], v[38:39], v[69:70], v[71:72]
	s_waitcnt lgkmcnt(7)
	v_mul_f64 v[36:37], v[144:145], v[87:88]
	v_mul_f64 v[38:39], v[142:143], v[87:88]
	v_fma_f64 v[168:169], v[34:35], v[73:74], v[75:76]
	ds_read_b128 v[68:71], v172 offset:30720
	ds_read_b128 v[72:75], v170 offset:1024
	s_waitcnt lgkmcnt(6)
	v_mul_f64 v[87:88], v[95:96], v[103:104]
	v_mul_f64 v[103:104], v[93:94], v[103:104]
	v_fma_f64 v[160:161], v[28:29], v[77:78], -v[160:161]
	v_fma_f64 v[170:171], v[30:31], v[77:78], v[79:80]
	ds_read_b128 v[76:79], v173 offset:30720
	v_fma_f64 v[164:165], v[24:25], v[81:82], -v[164:165]
	v_fma_f64 v[174:175], v[26:27], v[81:82], v[83:84]
	ds_read_b128 v[80:83], v32 offset:1024
	s_waitcnt lgkmcnt(5)
	v_mul_f64 v[172:173], v[46:47], v[42:43]
	v_mul_f64 v[42:43], v[44:45], v[42:43]
	v_and_b32_e32 v24, 0x3f0, v178
	v_lshrrev_b32_e32 v178, 8, v177
	ds_read_b128 v[28:31], v176 offset:30720
	ds_read_b128 v[32:35], v179 offset:1024
	v_and_b32_e32 v25, 0x3f0, v186
	v_add_f64 v[138:139], v[150:151], -v[138:139]
	v_add_nc_u32_e32 v84, s4, v24
	v_and_b32_e32 v178, 0x3f0, v178
	v_add_nc_u32_e32 v179, s4, v25
	v_fma_f64 v[142:143], v[142:143], v[85:86], -v[36:37]
	v_fma_f64 v[144:145], v[144:145], v[85:86], v[38:39]
	ds_read_b128 v[24:27], v180 offset:2048
	ds_read_b128 v[36:39], v181 offset:30720
	v_fma_f64 v[176:177], v[93:94], v[101:102], -v[87:88]
	v_fma_f64 v[101:102], v[95:96], v[101:102], v[103:104]
	s_waitcnt lgkmcnt(6)
	v_mul_f64 v[103:104], v[70:71], v[74:75]
	v_mul_f64 v[74:75], v[68:69], v[74:75]
	v_add_f64 v[160:161], v[16:17], -v[160:161]
	v_add_f64 v[164:165], v[140:141], -v[164:165]
	ds_read_b128 v[84:87], v84 offset:2048
	ds_read_b128 v[93:96], v179 offset:2048
	v_add_nc_u32_e32 v88, s4, v182
	v_fma_f64 v[44:45], v[44:45], v[40:41], -v[172:173]
	v_fma_f64 v[40:41], v[46:47], v[40:41], v[42:43]
	s_waitcnt lgkmcnt(6)
	v_mul_f64 v[42:43], v[78:79], v[82:83]
	v_add_f64 v[46:47], v[20:21], -v[158:159]
	v_add_f64 v[158:159], v[22:23], -v[162:163]
	;; [unrolled: 1-line block ×5, first 2 shown]
	v_mul_f64 v[82:83], v[76:77], v[82:83]
	v_mul_f64 v[172:173], v[152:153], v[99:100]
	v_add_nc_u32_e32 v179, s4, v183
	v_lshl_add_u32 v180, v184, 4, 0
	v_and_b32_e32 v182, 63, v107
	v_lshrrev_b32_e32 v183, 2, v107
	v_lshrrev_b32_e32 v184, 8, v107
	v_and_b32_e32 v181, 0x3f0, v185
	v_fma_f64 v[68:69], v[68:69], v[72:73], -v[103:104]
	v_fma_f64 v[70:71], v[70:71], v[72:73], v[74:75]
	v_mul_f64 v[72:73], v[105:106], v[99:100]
	v_mul_f64 v[74:75], v[156:157], v[132:133]
	;; [unrolled: 1-line block ×3, first 2 shown]
	v_fma_f64 v[132:133], v[16:17], 2.0, -v[160:161]
	v_fma_f64 v[42:43], v[76:77], v[80:81], -v[42:43]
	v_fma_f64 v[76:77], v[20:21], 2.0, -v[46:47]
	v_fma_f64 v[99:100], v[22:23], 2.0, -v[158:159]
	;; [unrolled: 1-line block ×7, first 2 shown]
	v_mul_f64 v[140:141], v[136:137], v[148:149]
	v_fma_f64 v[78:79], v[78:79], v[80:81], v[82:83]
	v_mul_f64 v[80:81], v[134:135], v[148:149]
	v_mul_f64 v[82:83], v[144:145], v[91:92]
	;; [unrolled: 1-line block ×4, first 2 shown]
	v_fma_f64 v[106:107], v[97:98], v[105:106], -v[172:173]
	v_mul_f64 v[62:63], v[176:177], v[62:63]
	v_add_f64 v[138:139], v[158:159], v[138:139]
	v_add_f64 v[154:155], v[46:47], -v[162:163]
	v_fma_f64 v[72:73], v[97:98], v[152:153], v[72:73]
	v_mul_f64 v[97:98], v[44:45], v[66:67]
	v_fma_f64 v[74:75], v[130:131], v[118:119], -v[74:75]
	v_add_f64 v[164:165], v[166:167], v[164:165]
	s_waitcnt lgkmcnt(0)
	v_mul_f64 v[152:153], v[42:43], v[95:96]
	v_add_f64 v[168:169], v[160:161], -v[170:171]
	v_mul_f64 v[170:171], v[68:69], v[86:87]
	v_add_f64 v[118:119], v[99:100], -v[20:21]
	v_add_f64 v[162:163], v[76:77], -v[22:23]
	v_mul_f64 v[66:67], v[40:41], v[66:67]
	v_add_f64 v[172:173], v[150:151], -v[16:17]
	v_add_f64 v[174:175], v[132:133], -v[18:19]
	v_fma_f64 v[103:104], v[130:131], v[156:157], v[103:104]
	v_mul_f64 v[86:87], v[70:71], v[86:87]
	v_fma_f64 v[80:81], v[146:147], v[136:137], v[80:81]
	v_mul_f64 v[95:96], v[78:79], v[95:96]
	v_fma_f64 v[91:92], v[89:90], v[144:145], v[91:92]
	ds_read_b128 v[20:23], v88 offset:1024
	ds_read_b128 v[16:19], v179 offset:2048
	v_fma_f64 v[82:83], v[89:90], v[142:143], -v[82:83]
	v_fma_f64 v[62:63], v[60:61], v[101:102], v[62:63]
	v_fma_f64 v[130:131], v[158:159], 2.0, -v[138:139]
	v_fma_f64 v[46:47], v[46:47], 2.0, -v[154:155]
	v_and_b32_e32 v159, 0x3f0, v183
	v_fma_f64 v[40:41], v[64:65], v[40:41], v[97:98]
	v_add_nc_u32_e32 v158, s4, v178
	v_add_nc_u32_e32 v179, s4, v181
	v_fma_f64 v[78:79], v[93:94], v[78:79], v[152:153]
	v_fma_f64 v[152:153], v[166:167], 2.0, -v[164:165]
	v_fma_f64 v[156:157], v[160:161], 2.0, -v[168:169]
	;; [unrolled: 1-line block ×4, first 2 shown]
	v_fma_f64 v[70:71], v[84:85], v[70:71], v[170:171]
	v_fma_f64 v[150:151], v[150:151], 2.0, -v[172:173]
	v_fma_f64 v[132:133], v[132:133], 2.0, -v[174:175]
	v_fma_f64 v[76:77], v[146:147], v[134:135], -v[140:141]
	v_fma_f64 v[134:135], v[60:61], v[176:177], -v[148:149]
	;; [unrolled: 1-line block ×5, first 2 shown]
	v_mul_f64 v[84:85], v[138:139], v[91:92]
	v_mul_f64 v[86:87], v[154:155], v[91:92]
	;; [unrolled: 1-line block ×6, first 2 shown]
	v_and_b32_e32 v96, 0x3f0, v184
	v_lshl_add_u32 v160, v182, 4, 0
	v_add_nc_u32_e32 v159, s4, v159
	v_mul_f64 v[94:95], v[164:165], v[78:79]
	v_mul_f64 v[78:79], v[168:169], v[78:79]
	v_mul_f64 v[140:141], v[152:153], v[40:41]
	v_mul_f64 v[104:105], v[136:137], v[72:73]
	v_mul_f64 v[72:73], v[144:145], v[72:73]
	v_mul_f64 v[40:41], v[156:157], v[40:41]
	v_mul_f64 v[142:143], v[172:173], v[70:71]
	v_mul_f64 v[70:71], v[174:175], v[70:71]
	v_mul_f64 v[146:147], v[150:151], v[62:63]
	v_mul_f64 v[148:149], v[132:133], v[62:63]
	v_add_nc_u32_e32 v161, s4, v96
	ds_read_b128 v[60:63], v180 offset:30720
	ds_read_b128 v[64:67], v179 offset:1024
	s_mov_b32 s4, 0
	v_fma_f64 v[84:85], v[154:155], v[82:83], -v[84:85]
	v_fma_f64 v[86:87], v[138:139], v[82:83], v[86:87]
	v_fma_f64 v[100:101], v[162:163], v[76:77], -v[92:93]
	v_fma_f64 v[96:97], v[46:47], v[74:75], -v[88:89]
	v_fma_f64 v[98:99], v[130:131], v[74:75], v[90:91]
	v_fma_f64 v[102:103], v[118:119], v[76:77], v[80:81]
	v_fma_f64 v[76:77], v[168:169], v[42:43], -v[94:95]
	v_fma_f64 v[78:79], v[164:165], v[42:43], v[78:79]
	v_fma_f64 v[88:89], v[156:157], v[44:45], -v[140:141]
	v_fma_f64 v[104:105], v[144:145], v[106:107], -v[104:105]
	v_fma_f64 v[106:107], v[136:137], v[106:107], v[72:73]
	v_fma_f64 v[90:91], v[152:153], v[44:45], v[40:41]
	v_fma_f64 v[80:81], v[174:175], v[68:69], -v[142:143]
	v_fma_f64 v[82:83], v[172:173], v[68:69], v[70:71]
	v_fma_f64 v[92:93], v[132:133], v[134:135], -v[146:147]
	v_fma_f64 v[94:95], v[150:151], v[134:135], v[148:149]
	ds_read_b128 v[40:43], v158 offset:2048
	ds_read_b128 v[68:71], v160 offset:30720
	;; [unrolled: 1-line block ×4, first 2 shown]
	s_cbranch_vccz .LBB0_22
; %bb.19:
	s_mov_b32 s5, 0
                                        ; implicit-def: $vgpr118_vgpr119
	s_and_saveexec_b32 s6, s1
	s_xor_b32 s1, exec_lo, s6
	s_cbranch_execz .LBB0_21
; %bb.20:
	v_mad_u64_u32 v[118:119], null, s16, v124, 0
	v_mad_u64_u32 v[130:131], null, s16, v125, 0
	s_lshl_b64 s[6:7], s[2:3], 4
	v_mad_u64_u32 v[138:139], null, s16, v127, 0
	s_add_u32 s4, s8, s6
	v_mad_u64_u32 v[132:133], null, s17, v124, v[119:120]
	v_mad_u64_u32 v[133:134], null, s16, v126, 0
	s_addc_u32 s6, s9, s7
	v_mad_u64_u32 v[135:136], null, s17, v125, v[131:132]
	v_lshlrev_b64 v[136:137], 4, v[116:117]
	v_mov_b32_e32 v119, v132
	v_mov_b32_e32 v132, v134
	v_mov_b32_e32 v131, v135
	v_lshlrev_b64 v[134:135], 4, v[118:119]
	v_add_co_u32 v118, vcc_lo, s4, v136
	v_add_co_ci_u32_e32 v119, vcc_lo, s6, v137, vcc_lo
	v_mad_u64_u32 v[136:137], null, s17, v126, v[132:133]
	v_lshlrev_b64 v[130:131], 4, v[130:131]
	v_add_co_u32 v140, vcc_lo, v118, v134
	v_add_co_ci_u32_e32 v141, vcc_lo, v119, v135, vcc_lo
	v_mov_b32_e32 v132, v139
	v_add_co_u32 v130, vcc_lo, v118, v130
	v_add_co_ci_u32_e32 v131, vcc_lo, v119, v131, vcc_lo
	v_mov_b32_e32 v134, v136
	global_store_dwordx4 v[140:141], v[104:107], off
	v_mad_u32_u24 v141, 0x78, v129, v128
	global_store_dwordx4 v[130:131], v[96:99], off
	s_and_b32 s4, s0, exec_lo
	v_lshlrev_b64 v[130:131], 4, v[133:134]
	v_mad_u64_u32 v[132:133], null, s17, v127, v[132:133]
	v_add_nc_u32_e32 v142, 40, v141
	v_mad_u64_u32 v[133:134], null, s16, v141, 0
	v_add_co_u32 v130, vcc_lo, v118, v130
	v_add_co_ci_u32_e32 v131, vcc_lo, v119, v131, vcc_lo
	v_add_nc_u32_e32 v143, 0x50, v141
	v_mad_u64_u32 v[135:136], null, s16, v142, 0
	v_mov_b32_e32 v139, v132
	global_store_dwordx4 v[130:131], v[100:103], off
	v_mad_u64_u32 v[131:132], null, s16, v143, 0
	v_mov_b32_e32 v130, v134
	v_add_nc_u32_e32 v145, 0x78, v141
	v_mov_b32_e32 v134, v136
	v_lshlrev_b64 v[137:138], 4, v[138:139]
	v_mad_u64_u32 v[139:140], null, s17, v141, v[130:131]
	v_mad_u64_u32 v[140:141], null, s17, v142, v[134:135]
	v_mad_u64_u32 v[141:142], null, s16, v145, 0
	v_mov_b32_e32 v130, v132
	v_add_co_u32 v137, vcc_lo, v118, v137
	v_add_co_ci_u32_e32 v138, vcc_lo, v119, v138, vcc_lo
	v_mad_u64_u32 v[143:144], null, s17, v143, v[130:131]
	v_mov_b32_e32 v130, v142
	v_mov_b32_e32 v134, v139
	global_store_dwordx4 v[137:138], v[84:87], off
	v_mov_b32_e32 v136, v140
	v_mad_u64_u32 v[137:138], null, s17, v145, v[130:131]
	v_lshlrev_b64 v[133:134], 4, v[133:134]
	v_mov_b32_e32 v132, v143
	v_lshlrev_b64 v[135:136], 4, v[135:136]
	v_mov_b32_e32 v142, v137
	v_add_co_u32 v133, vcc_lo, v118, v133
	v_lshlrev_b64 v[130:131], 4, v[131:132]
	v_add_co_ci_u32_e32 v134, vcc_lo, v119, v134, vcc_lo
	v_add_co_u32 v135, vcc_lo, v118, v135
	v_lshlrev_b64 v[137:138], 4, v[141:142]
	v_add_co_ci_u32_e32 v136, vcc_lo, v119, v136, vcc_lo
	v_add_co_u32 v130, vcc_lo, v118, v130
	v_add_co_ci_u32_e32 v131, vcc_lo, v119, v131, vcc_lo
	v_add_co_u32 v137, vcc_lo, v118, v137
	v_add_co_ci_u32_e32 v138, vcc_lo, v119, v138, vcc_lo
	global_store_dwordx4 v[133:134], v[92:95], off
	global_store_dwordx4 v[135:136], v[88:91], off
	;; [unrolled: 1-line block ×4, first 2 shown]
.LBB0_21:
	s_or_b32 exec_lo, exec_lo, s1
	s_and_b32 vcc_lo, exec_lo, s5
	s_cbranch_vccnz .LBB0_23
	s_branch .LBB0_24
.LBB0_22:
                                        ; implicit-def: $vgpr118_vgpr119
	s_cbranch_execz .LBB0_24
.LBB0_23:
	v_mad_u64_u32 v[118:119], null, s16, v124, 0
	v_mad_u64_u32 v[130:131], null, s16, v125, 0
	;; [unrolled: 1-line block ×3, first 2 shown]
	v_mad_u32_u24 v137, 0x78, v129, v128
	v_lshlrev_b64 v[116:117], 4, v[116:117]
	v_mad_u64_u32 v[134:135], null, s17, v124, v[119:120]
	v_mov_b32_e32 v124, v131
	s_lshl_b64 s[2:3], s[2:3], 4
	v_mov_b32_e32 v128, v133
	s_add_u32 s1, s8, s2
	s_addc_u32 s2, s9, s3
	v_mad_u64_u32 v[124:125], null, s17, v125, v[124:125]
	v_mov_b32_e32 v119, v134
	v_mad_u64_u32 v[125:126], null, s17, v126, v[128:129]
	v_mad_u64_u32 v[135:136], null, s16, v127, 0
	v_lshlrev_b64 v[128:129], 4, v[118:119]
	v_add_co_u32 v118, vcc_lo, s1, v116
	v_mov_b32_e32 v131, v124
	v_add_co_ci_u32_e32 v119, vcc_lo, s2, v117, vcc_lo
	v_mov_b32_e32 v133, v125
	v_add_co_u32 v116, vcc_lo, v118, v128
	v_lshlrev_b64 v[124:125], 4, v[130:131]
	v_add_co_ci_u32_e32 v117, vcc_lo, v119, v129, vcc_lo
	v_mad_u64_u32 v[128:129], null, s16, v137, 0
	v_mov_b32_e32 v126, v136
	v_lshlrev_b64 v[130:131], 4, v[132:133]
	v_add_co_u32 v124, vcc_lo, v118, v124
	v_add_co_ci_u32_e32 v125, vcc_lo, v119, v125, vcc_lo
	v_mad_u64_u32 v[126:127], null, s17, v127, v[126:127]
	v_mov_b32_e32 v127, v129
	v_add_co_u32 v129, vcc_lo, v118, v130
	v_add_nc_u32_e32 v133, 40, v137
	v_add_co_ci_u32_e32 v130, vcc_lo, v119, v131, vcc_lo
	global_store_dwordx4 v[116:117], v[104:107], off
	global_store_dwordx4 v[124:125], v[96:99], off
	;; [unrolled: 1-line block ×3, first 2 shown]
	v_mad_u64_u32 v[131:132], null, s16, v133, 0
	v_add_nc_u32_e32 v104, 0x50, v137
	v_mov_b32_e32 v136, v126
	v_mad_u64_u32 v[126:127], null, s17, v137, v[127:128]
	v_add_nc_u32_e32 v107, 0x78, v137
	v_mad_u64_u32 v[99:100], null, s16, v104, 0
	v_mov_b32_e32 v98, v132
	v_lshlrev_b64 v[96:97], 4, v[135:136]
	s_andn2_b32 s1, s4, exec_lo
	v_mov_b32_e32 v129, v126
	s_and_b32 s0, s0, exec_lo
	v_mad_u64_u32 v[101:102], null, s17, v133, v[98:99]
	v_mov_b32_e32 v98, v100
	v_mad_u64_u32 v[102:103], null, s16, v107, 0
	v_add_co_u32 v96, vcc_lo, v118, v96
	v_mad_u64_u32 v[104:105], null, s17, v104, v[98:99]
	v_mov_b32_e32 v132, v101
	v_lshlrev_b64 v[100:101], 4, v[128:129]
	v_add_co_ci_u32_e32 v97, vcc_lo, v119, v97, vcc_lo
	s_or_b32 s4, s1, s0
	v_lshlrev_b64 v[105:106], 4, v[131:132]
	v_mad_u64_u32 v[116:117], null, s17, v107, v[103:104]
	v_add_co_u32 v124, vcc_lo, v118, v100
	v_mov_b32_e32 v100, v104
	v_add_co_ci_u32_e32 v125, vcc_lo, v119, v101, vcc_lo
	v_add_co_u32 v104, vcc_lo, v118, v105
	v_mov_b32_e32 v103, v116
	v_add_co_ci_u32_e32 v105, vcc_lo, v119, v106, vcc_lo
	v_lshlrev_b64 v[98:99], 4, v[99:100]
	global_store_dwordx4 v[96:97], v[84:87], off
	global_store_dwordx4 v[124:125], v[92:95], off
	;; [unrolled: 1-line block ×3, first 2 shown]
	v_lshlrev_b64 v[84:85], 4, v[102:103]
	v_add_co_u32 v86, vcc_lo, v118, v98
	v_add_co_ci_u32_e32 v87, vcc_lo, v119, v99, vcc_lo
	v_add_co_u32 v84, vcc_lo, v118, v84
	v_add_co_ci_u32_e32 v85, vcc_lo, v119, v85, vcc_lo
	global_store_dwordx4 v[86:87], v[80:83], off
	global_store_dwordx4 v[84:85], v[76:79], off
.LBB0_24:
	s_and_saveexec_b32 s0, s4
	s_cbranch_execnz .LBB0_26
; %bb.25:
	s_endpgm
.LBB0_26:
	s_waitcnt vmcnt(0)
	v_mul_f64 v[76:77], v[14:15], v[58:59]
	v_mul_f64 v[58:59], v[12:13], v[58:59]
	;; [unrolled: 1-line block ×6, first 2 shown]
	v_fma_f64 v[12:13], v[12:13], v[56:57], -v[76:77]
	v_fma_f64 v[14:15], v[14:15], v[56:57], v[58:59]
	v_fma_f64 v[0:1], v[0:1], v[52:53], -v[78:79]
	v_fma_f64 v[2:3], v[2:3], v[52:53], v[54:55]
	v_fma_f64 v[6:7], v[6:7], v[48:49], v[80:81]
	v_fma_f64 v[4:5], v[4:5], v[48:49], -v[50:51]
	v_mul_f64 v[48:49], v[30:31], v[34:35]
	s_waitcnt lgkmcnt(1)
	v_mul_f64 v[50:51], v[70:71], v[74:75]
	v_mul_f64 v[52:53], v[38:39], v[22:23]
	;; [unrolled: 1-line block ×7, first 2 shown]
	v_add_f64 v[0:1], v[8:9], -v[0:1]
	v_add_f64 v[2:3], v[10:11], -v[2:3]
	;; [unrolled: 1-line block ×4, first 2 shown]
	v_fma_f64 v[28:29], v[28:29], v[32:33], -v[48:49]
	v_fma_f64 v[48:49], v[68:69], v[72:73], -v[50:51]
	;; [unrolled: 1-line block ×4, first 2 shown]
	v_fma_f64 v[30:31], v[30:31], v[32:33], v[34:35]
	v_fma_f64 v[20:21], v[38:39], v[20:21], v[22:23]
	v_fma_f64 v[22:23], v[62:63], v[64:65], v[56:57]
	v_fma_f64 v[32:33], v[70:71], v[72:73], v[58:59]
	v_fma_f64 v[8:9], v[8:9], 2.0, -v[0:1]
	v_fma_f64 v[10:11], v[10:11], 2.0, -v[2:3]
	;; [unrolled: 1-line block ×4, first 2 shown]
	v_mul_f64 v[34:35], v[28:29], v[26:27]
	s_waitcnt lgkmcnt(0)
	v_mul_f64 v[38:39], v[48:49], v[46:47]
	v_mul_f64 v[52:53], v[36:37], v[18:19]
	v_add_f64 v[54:55], v[2:3], v[4:5]
	v_add_f64 v[4:5], v[0:1], -v[6:7]
	v_mul_f64 v[6:7], v[50:51], v[42:43]
	v_mul_f64 v[26:27], v[30:31], v[26:27]
	;; [unrolled: 1-line block ×5, first 2 shown]
	v_add_f64 v[14:15], v[10:11], -v[14:15]
	v_add_f64 v[12:13], v[8:9], -v[12:13]
	v_fma_f64 v[30:31], v[24:25], v[30:31], v[34:35]
	v_fma_f64 v[32:33], v[44:45], v[32:33], v[38:39]
	;; [unrolled: 1-line block ×3, first 2 shown]
	v_fma_f64 v[2:3], v[2:3], 2.0, -v[54:55]
	v_fma_f64 v[34:35], v[0:1], 2.0, -v[4:5]
	v_fma_f64 v[0:1], v[40:41], v[22:23], v[6:7]
	v_mov_b32_e32 v6, v115
	v_mov_b32_e32 v7, v113
	v_fma_f64 v[24:25], v[24:25], v[28:29], -v[26:27]
	v_fma_f64 v[16:17], v[16:17], v[36:37], -v[18:19]
	;; [unrolled: 1-line block ×4, first 2 shown]
	v_mad_u64_u32 v[38:39], null, s17, v122, v[6:7]
	v_mov_b32_e32 v22, v111
	v_mov_b32_e32 v23, v109
	v_fma_f64 v[10:11], v[10:11], 2.0, -v[14:15]
	v_fma_f64 v[8:9], v[8:9], 2.0, -v[12:13]
	v_mov_b32_e32 v115, v38
	v_mul_f64 v[28:29], v[54:55], v[32:33]
	v_mul_f64 v[32:33], v[4:5], v[32:33]
	;; [unrolled: 1-line block ×6, first 2 shown]
	v_mad_u64_u32 v[0:1], null, s17, v120, v[22:23]
	v_mad_u64_u32 v[22:23], null, s17, v121, v[23:24]
	v_mov_b32_e32 v111, v0
	v_mov_b32_e32 v109, v22
	v_lshlrev_b64 v[22:23], 4, v[114:115]
	v_mul_f64 v[39:40], v[10:11], v[30:31]
	v_mul_f64 v[30:31], v[8:9], v[30:31]
	v_mad_u64_u32 v[6:7], null, s17, v123, v[7:8]
	v_fma_f64 v[0:1], v[4:5], v[26:27], -v[28:29]
	v_fma_f64 v[4:5], v[34:35], v[16:17], -v[36:37]
	v_lshlrev_b64 v[47:48], 4, v[110:111]
	v_fma_f64 v[12:13], v[12:13], v[18:19], -v[41:42]
	v_fma_f64 v[14:15], v[14:15], v[18:19], v[43:44]
	v_add_co_u32 v18, vcc_lo, v118, v22
	v_mov_b32_e32 v113, v6
	v_fma_f64 v[6:7], v[2:3], v[16:17], v[20:21]
	v_fma_f64 v[2:3], v[54:55], v[26:27], v[32:33]
	v_add_co_ci_u32_e32 v19, vcc_lo, v119, v23, vcc_lo
	v_lshlrev_b64 v[45:46], 4, v[112:113]
	v_lshlrev_b64 v[16:17], 4, v[108:109]
	v_fma_f64 v[8:9], v[8:9], v[24:25], -v[39:40]
	v_fma_f64 v[10:11], v[10:11], v[24:25], v[30:31]
	v_add_co_u32 v20, vcc_lo, v118, v45
	v_add_co_ci_u32_e32 v21, vcc_lo, v119, v46, vcc_lo
	v_add_co_u32 v22, vcc_lo, v118, v47
	v_add_co_ci_u32_e32 v23, vcc_lo, v119, v48, vcc_lo
	;; [unrolled: 2-line block ×3, first 2 shown]
	global_store_dwordx4 v[18:19], v[8:11], off
	global_store_dwordx4 v[20:21], v[4:7], off
	;; [unrolled: 1-line block ×4, first 2 shown]
	s_endpgm
	.section	.rodata,"a",@progbits
	.p2align	6, 0x0
	.amdhsa_kernel fft_rtc_fwd_len160_factors_4_10_4_wgs_192_tpt_16_dp_ip_CI_sbcc_twdbase6_3step_dirReg_intrinsicRead
		.amdhsa_group_segment_fixed_size 0
		.amdhsa_private_segment_fixed_size 0
		.amdhsa_kernarg_size 96
		.amdhsa_user_sgpr_count 6
		.amdhsa_user_sgpr_private_segment_buffer 1
		.amdhsa_user_sgpr_dispatch_ptr 0
		.amdhsa_user_sgpr_queue_ptr 0
		.amdhsa_user_sgpr_kernarg_segment_ptr 1
		.amdhsa_user_sgpr_dispatch_id 0
		.amdhsa_user_sgpr_flat_scratch_init 0
		.amdhsa_user_sgpr_private_segment_size 0
		.amdhsa_wavefront_size32 1
		.amdhsa_uses_dynamic_stack 0
		.amdhsa_system_sgpr_private_segment_wavefront_offset 0
		.amdhsa_system_sgpr_workgroup_id_x 1
		.amdhsa_system_sgpr_workgroup_id_y 0
		.amdhsa_system_sgpr_workgroup_id_z 0
		.amdhsa_system_sgpr_workgroup_info 0
		.amdhsa_system_vgpr_workitem_id 0
		.amdhsa_next_free_vgpr 187
		.amdhsa_next_free_sgpr 44
		.amdhsa_reserve_vcc 1
		.amdhsa_reserve_flat_scratch 0
		.amdhsa_float_round_mode_32 0
		.amdhsa_float_round_mode_16_64 0
		.amdhsa_float_denorm_mode_32 3
		.amdhsa_float_denorm_mode_16_64 3
		.amdhsa_dx10_clamp 1
		.amdhsa_ieee_mode 1
		.amdhsa_fp16_overflow 0
		.amdhsa_workgroup_processor_mode 1
		.amdhsa_memory_ordered 1
		.amdhsa_forward_progress 0
		.amdhsa_shared_vgpr_count 0
		.amdhsa_exception_fp_ieee_invalid_op 0
		.amdhsa_exception_fp_denorm_src 0
		.amdhsa_exception_fp_ieee_div_zero 0
		.amdhsa_exception_fp_ieee_overflow 0
		.amdhsa_exception_fp_ieee_underflow 0
		.amdhsa_exception_fp_ieee_inexact 0
		.amdhsa_exception_int_div_zero 0
	.end_amdhsa_kernel
	.text
.Lfunc_end0:
	.size	fft_rtc_fwd_len160_factors_4_10_4_wgs_192_tpt_16_dp_ip_CI_sbcc_twdbase6_3step_dirReg_intrinsicRead, .Lfunc_end0-fft_rtc_fwd_len160_factors_4_10_4_wgs_192_tpt_16_dp_ip_CI_sbcc_twdbase6_3step_dirReg_intrinsicRead
                                        ; -- End function
	.section	.AMDGPU.csdata,"",@progbits
; Kernel info:
; codeLenInByte = 8904
; NumSgprs: 46
; NumVgprs: 187
; ScratchSize: 0
; MemoryBound: 0
; FloatMode: 240
; IeeeMode: 1
; LDSByteSize: 0 bytes/workgroup (compile time only)
; SGPRBlocks: 5
; VGPRBlocks: 23
; NumSGPRsForWavesPerEU: 46
; NumVGPRsForWavesPerEU: 187
; Occupancy: 5
; WaveLimiterHint : 1
; COMPUTE_PGM_RSRC2:SCRATCH_EN: 0
; COMPUTE_PGM_RSRC2:USER_SGPR: 6
; COMPUTE_PGM_RSRC2:TRAP_HANDLER: 0
; COMPUTE_PGM_RSRC2:TGID_X_EN: 1
; COMPUTE_PGM_RSRC2:TGID_Y_EN: 0
; COMPUTE_PGM_RSRC2:TGID_Z_EN: 0
; COMPUTE_PGM_RSRC2:TIDIG_COMP_CNT: 0
	.text
	.p2alignl 6, 3214868480
	.fill 48, 4, 3214868480
	.type	__hip_cuid_3426c5cd559b8e70,@object ; @__hip_cuid_3426c5cd559b8e70
	.section	.bss,"aw",@nobits
	.globl	__hip_cuid_3426c5cd559b8e70
__hip_cuid_3426c5cd559b8e70:
	.byte	0                               ; 0x0
	.size	__hip_cuid_3426c5cd559b8e70, 1

	.ident	"AMD clang version 19.0.0git (https://github.com/RadeonOpenCompute/llvm-project roc-6.4.0 25133 c7fe45cf4b819c5991fe208aaa96edf142730f1d)"
	.section	".note.GNU-stack","",@progbits
	.addrsig
	.addrsig_sym __hip_cuid_3426c5cd559b8e70
	.amdgpu_metadata
---
amdhsa.kernels:
  - .args:
      - .actual_access:  read_only
        .address_space:  global
        .offset:         0
        .size:           8
        .value_kind:     global_buffer
      - .address_space:  global
        .offset:         8
        .size:           8
        .value_kind:     global_buffer
      - .offset:         16
        .size:           8
        .value_kind:     by_value
      - .actual_access:  read_only
        .address_space:  global
        .offset:         24
        .size:           8
        .value_kind:     global_buffer
      - .actual_access:  read_only
        .address_space:  global
        .offset:         32
        .size:           8
        .value_kind:     global_buffer
      - .offset:         40
        .size:           8
        .value_kind:     by_value
      - .actual_access:  read_only
        .address_space:  global
        .offset:         48
        .size:           8
        .value_kind:     global_buffer
      - .actual_access:  read_only
        .address_space:  global
        .offset:         56
        .size:           8
        .value_kind:     global_buffer
      - .offset:         64
        .size:           4
        .value_kind:     by_value
      - .actual_access:  read_only
        .address_space:  global
        .offset:         72
        .size:           8
        .value_kind:     global_buffer
      - .actual_access:  read_only
        .address_space:  global
        .offset:         80
        .size:           8
        .value_kind:     global_buffer
      - .address_space:  global
        .offset:         88
        .size:           8
        .value_kind:     global_buffer
    .group_segment_fixed_size: 0
    .kernarg_segment_align: 8
    .kernarg_segment_size: 96
    .language:       OpenCL C
    .language_version:
      - 2
      - 0
    .max_flat_workgroup_size: 192
    .name:           fft_rtc_fwd_len160_factors_4_10_4_wgs_192_tpt_16_dp_ip_CI_sbcc_twdbase6_3step_dirReg_intrinsicRead
    .private_segment_fixed_size: 0
    .sgpr_count:     46
    .sgpr_spill_count: 0
    .symbol:         fft_rtc_fwd_len160_factors_4_10_4_wgs_192_tpt_16_dp_ip_CI_sbcc_twdbase6_3step_dirReg_intrinsicRead.kd
    .uniform_work_group_size: 1
    .uses_dynamic_stack: false
    .vgpr_count:     187
    .vgpr_spill_count: 0
    .wavefront_size: 32
    .workgroup_processor_mode: 1
amdhsa.target:   amdgcn-amd-amdhsa--gfx1030
amdhsa.version:
  - 1
  - 2
...

	.end_amdgpu_metadata
